;; amdgpu-corpus repo=linkedin/Liger-Kernel kind=triton arch=gfx950 opt=O3 lang=triton
	.amdgcn_target "amdgcn-amd-amdhsa--gfx950"
	.amdhsa_code_object_version 5
	.text
	.globl	_geglu_tanh_forward_kernel      ; -- Begin function _geglu_tanh_forward_kernel
	.p2align	8
	.type	_geglu_tanh_forward_kernel,@function
_geglu_tanh_forward_kernel:             ; @_geglu_tanh_forward_kernel
.Lfunc_begin0:
	.cfi_sections .debug_frame
	.cfi_startproc
; %bb.33:
	.file	1 "/root/src/amdgpu-assembly/repos/linkedin__Liger-Kernel/triton_aot_kernels" "geglu_aot.py"
	.loc	1 10 0 prologue_end             ; geglu_aot.py:10:0
	s_load_dwordx2 s[2:3], s[0:1], 0x0
	s_load_dwordx8 s[4:11], s[0:1], 0x8
	s_load_dwordx2 s[12:13], s[0:1], 0x28
	s_waitcnt lgkmcnt(0)
	s_branch .LBB0_0
	.loc	1 0 0 is_stmt 0                 ; :0:0
.Ltmp0:
	.p2align	8
; %bb.34:
.LBB0_0:
.Ltmp1:
	.loc	1 18 31 is_stmt 1               ; geglu_aot.py:18:31
	v_readfirstlane_b32 s0, v0
	.loc	1 31 30                         ; geglu_aot.py:31:30
	s_and_b32 s9, s0, 0xc0
	.loc	1 14 22                         ; geglu_aot.py:14:22
	s_mul_hi_i32 s1, s8, s14
	s_mul_i32 s0, s8, s14
	.loc	1 14 9 is_stmt 0                ; geglu_aot.py:14:9
	s_lshl_b64 s[0:1], s[0:1], 2
	s_add_u32 s8, s2, s0
	s_addc_u32 s2, s3, s1
	.loc	1 15 9 is_stmt 1                ; geglu_aot.py:15:9
	s_add_u32 s12, s4, s0
	s_addc_u32 s3, s5, s1
	.loc	1 18 31                         ; geglu_aot.py:18:31
	v_and_or_b32 v0, v0, 63, s9
	s_mov_b32 s11, 0x27000
	s_mov_b32 s10, 0x7ffffffe
	.loc	1 20 20                         ; geglu_aot.py:20:20
	v_lshlrev_b32_e32 v0, 2, v0
	.loc	1 21 20                         ; geglu_aot.py:21:20
	s_and_b32 s13, s3, 0xffff
	s_mov_b32 s14, s10
	s_mov_b32 s15, s11
	.loc	1 20 20                         ; geglu_aot.py:20:20
	v_or_b32_e32 v1, 0x1000, v0
	.loc	1 21 20                         ; geglu_aot.py:21:20
	buffer_load_dword v2, v0, s[12:15], 0 offen
	buffer_load_dword v3, v0, s[12:15], 0 offen offset:1024
	buffer_load_dword v4, v0, s[12:15], 0 offen offset:2048
	;; [unrolled: 1-line block ×3, first 2 shown]
	buffer_load_dword v6, v1, s[12:15], 0 offen
	buffer_load_dword v7, v1, s[12:15], 0 offen offset:1024
	buffer_load_dword v8, v1, s[12:15], 0 offen offset:2048
	;; [unrolled: 1-line block ×3, first 2 shown]
	.loc	1 20 20                         ; geglu_aot.py:20:20
	s_and_b32 s9, s2, 0xffff
	buffer_load_dword v10, v0, s[8:11], 0 offen
	buffer_load_dword v11, v0, s[8:11], 0 offen offset:1024
	buffer_load_dword v12, v0, s[8:11], 0 offen offset:2048
	;; [unrolled: 1-line block ×3, first 2 shown]
	buffer_load_dword v14, v1, s[8:11], 0 offen
	buffer_load_dword v15, v1, s[8:11], 0 offen offset:1024
	buffer_load_dword v16, v1, s[8:11], 0 offen offset:2048
	;; [unrolled: 1-line block ×3, first 2 shown]
	s_mov_b32 s2, 0x3f200000
                                        ; implicit-def: $vgpr19
	.loc	1 26 30                         ; geglu_aot.py:26:30
	s_waitcnt vmcnt(7)
	v_mul_f32_e32 v18, v10, v10
	v_mul_f32_e32 v18, v18, v10
	.loc	1 27 41                         ; geglu_aot.py:27:41
	v_fmamk_f32 v18, v18, 0x3d372713, v10
	.loc	1 27 33 is_stmt 0               ; geglu_aot.py:27:33
	v_mul_f32_e32 v18, 0x3f4c422a, v18
	.loc	1 28 23 is_stmt 1               ; geglu_aot.py:28:23
	v_cmp_nlt_f32_e64 s[2:3], |v18|, s2
	s_and_saveexec_b64 s[4:5], s[2:3]
	s_xor_b64 s[2:3], exec, s[4:5]
	s_cbranch_execz .LBB0_2
; %bb.1:
	v_add_f32_e64 v19, |v18|, |v18|
	s_mov_b32 s4, 0x3fb8aa3b
	v_mul_f32_e32 v20, 0x3fb8aa3b, v19
	v_fma_f32 v21, v19, s4, -v20
	v_rndne_f32_e32 v20, v20
	v_fmamk_f32 v21, v19, 0x32a5705f, v21
	v_fma_f32 v22, v19, s4, -v20
	v_add_f32_e32 v21, v22, v21
	v_exp_f32_e32 v21, v21
	v_cvt_i32_f32_e32 v20, v20
	s_mov_b32 s4, 0xc2ce8ed0
	v_cmp_ngt_f32_e32 vcc, s4, v19
	s_mov_b32 s4, 0x42b17218
	v_ldexp_f32 v20, v21, v20
	v_cndmask_b32_e32 v20, 0, v20, vcc
	v_mov_b32_e32 v21, 0x7f800000
	v_cmp_nlt_f32_e32 vcc, s4, v19
	s_nop 1
	v_cndmask_b32_e32 v19, v21, v20, vcc
	v_add_f32_e32 v19, 1.0, v19
	v_rcp_f32_e32 v19, v19
	s_nop 0
	v_fma_f32 v19, v19, -2.0, 1.0
.LBB0_2:                                ; %Flow7
	.loc	1 0 23 is_stmt 0                ; geglu_aot.py:0:23
	s_andn2_saveexec_b64 s[2:3], s[2:3]
; %bb.3:
	.loc	1 28 23 is_stmt 1               ; geglu_aot.py:28:23
	v_mul_f32_e32 v19, v18, v18
	v_mov_b32_e32 v20, 0x3ca908c9
	v_fmac_f32_e32 v20, 0xbbbac73d, v19
	v_fmaak_f32 v20, v19, v20, 0xbd5c1c4e
	v_fmaak_f32 v20, v19, v20, 0x3e088382
	;; [unrolled: 1-line block ×3, first 2 shown]
	v_mul_f32_e64 v20, |v18|, v20
	v_fma_f32 v19, v19, v20, |v18|
; %bb.4:                                ; %__ocml_tanh_f32.exit
	.loc	1 0 23 is_stmt 0                ; geglu_aot.py:0:23
	s_or_b64 exec, exec, s[2:3]
	.loc	1 26 30 is_stmt 1               ; geglu_aot.py:26:30
	s_waitcnt vmcnt(6)
	v_mul_f32_e32 v20, v11, v11
	v_mul_f32_e32 v20, v20, v11
	.loc	1 27 41                         ; geglu_aot.py:27:41
	v_fmamk_f32 v20, v20, 0x3d372713, v11
	.loc	1 27 33 is_stmt 0               ; geglu_aot.py:27:33
	v_mul_f32_e32 v20, 0x3f4c422a, v20
	s_mov_b32 s2, 0x3f200000
	.loc	1 28 23 is_stmt 1               ; geglu_aot.py:28:23
	v_cmp_nlt_f32_e64 s[2:3], |v20|, s2
                                        ; implicit-def: $vgpr21
	s_and_saveexec_b64 s[4:5], s[2:3]
	s_xor_b64 s[2:3], exec, s[4:5]
	s_cbranch_execz .LBB0_6
; %bb.5:
	v_add_f32_e64 v21, |v20|, |v20|
	s_mov_b32 s4, 0x3fb8aa3b
	v_mul_f32_e32 v22, 0x3fb8aa3b, v21
	v_fma_f32 v23, v21, s4, -v22
	v_rndne_f32_e32 v22, v22
	v_fmamk_f32 v23, v21, 0x32a5705f, v23
	v_fma_f32 v24, v21, s4, -v22
	v_add_f32_e32 v23, v24, v23
	v_exp_f32_e32 v23, v23
	v_cvt_i32_f32_e32 v22, v22
	s_mov_b32 s4, 0xc2ce8ed0
	v_cmp_ngt_f32_e32 vcc, s4, v21
	s_mov_b32 s4, 0x42b17218
	v_ldexp_f32 v22, v23, v22
	v_cndmask_b32_e32 v22, 0, v22, vcc
	v_mov_b32_e32 v23, 0x7f800000
	v_cmp_nlt_f32_e32 vcc, s4, v21
	s_nop 1
	v_cndmask_b32_e32 v21, v23, v22, vcc
	v_add_f32_e32 v21, 1.0, v21
	v_rcp_f32_e32 v21, v21
	s_nop 0
	v_fma_f32 v21, v21, -2.0, 1.0
.LBB0_6:                                ; %Flow6
	.loc	1 0 23 is_stmt 0                ; geglu_aot.py:0:23
	s_andn2_saveexec_b64 s[2:3], s[2:3]
; %bb.7:
	.loc	1 28 23 is_stmt 1               ; geglu_aot.py:28:23
	v_mul_f32_e32 v21, v20, v20
	v_mov_b32_e32 v22, 0x3ca908c9
	v_fmac_f32_e32 v22, 0xbbbac73d, v21
	v_fmaak_f32 v22, v21, v22, 0xbd5c1c4e
	v_fmaak_f32 v22, v21, v22, 0x3e088382
	;; [unrolled: 1-line block ×3, first 2 shown]
	v_mul_f32_e64 v22, |v20|, v22
	v_fma_f32 v21, v21, v22, |v20|
; %bb.8:                                ; %__ocml_tanh_f32.exit1
	.loc	1 0 23 is_stmt 0                ; geglu_aot.py:0:23
	s_or_b64 exec, exec, s[2:3]
	.loc	1 26 30 is_stmt 1               ; geglu_aot.py:26:30
	s_waitcnt vmcnt(5)
	v_mul_f32_e32 v22, v12, v12
	v_mul_f32_e32 v22, v22, v12
	.loc	1 27 41                         ; geglu_aot.py:27:41
	v_fmamk_f32 v22, v22, 0x3d372713, v12
	.loc	1 27 33 is_stmt 0               ; geglu_aot.py:27:33
	v_mul_f32_e32 v22, 0x3f4c422a, v22
	s_mov_b32 s2, 0x3f200000
	.loc	1 28 23 is_stmt 1               ; geglu_aot.py:28:23
	v_cmp_nlt_f32_e64 s[2:3], |v22|, s2
                                        ; implicit-def: $vgpr23
	s_and_saveexec_b64 s[4:5], s[2:3]
	s_xor_b64 s[2:3], exec, s[4:5]
	s_cbranch_execz .LBB0_10
; %bb.9:
	v_add_f32_e64 v23, |v22|, |v22|
	s_mov_b32 s4, 0x3fb8aa3b
	v_mul_f32_e32 v24, 0x3fb8aa3b, v23
	v_fma_f32 v25, v23, s4, -v24
	v_rndne_f32_e32 v24, v24
	v_fmamk_f32 v25, v23, 0x32a5705f, v25
	v_fma_f32 v26, v23, s4, -v24
	v_add_f32_e32 v25, v26, v25
	v_exp_f32_e32 v25, v25
	v_cvt_i32_f32_e32 v24, v24
	s_mov_b32 s4, 0xc2ce8ed0
	v_cmp_ngt_f32_e32 vcc, s4, v23
	s_mov_b32 s4, 0x42b17218
	v_ldexp_f32 v24, v25, v24
	v_cndmask_b32_e32 v24, 0, v24, vcc
	v_mov_b32_e32 v25, 0x7f800000
	v_cmp_nlt_f32_e32 vcc, s4, v23
	s_nop 1
	v_cndmask_b32_e32 v23, v25, v24, vcc
	v_add_f32_e32 v23, 1.0, v23
	v_rcp_f32_e32 v23, v23
	s_nop 0
	v_fma_f32 v23, v23, -2.0, 1.0
.LBB0_10:                               ; %Flow5
	.loc	1 0 23 is_stmt 0                ; geglu_aot.py:0:23
	s_andn2_saveexec_b64 s[2:3], s[2:3]
; %bb.11:
	.loc	1 28 23 is_stmt 1               ; geglu_aot.py:28:23
	v_mul_f32_e32 v23, v22, v22
	v_mov_b32_e32 v24, 0x3ca908c9
	v_fmac_f32_e32 v24, 0xbbbac73d, v23
	v_fmaak_f32 v24, v23, v24, 0xbd5c1c4e
	v_fmaak_f32 v24, v23, v24, 0x3e088382
	;; [unrolled: 1-line block ×3, first 2 shown]
	v_mul_f32_e64 v24, |v22|, v24
	v_fma_f32 v23, v23, v24, |v22|
; %bb.12:                               ; %__ocml_tanh_f32.exit2
	.loc	1 0 23 is_stmt 0                ; geglu_aot.py:0:23
	s_or_b64 exec, exec, s[2:3]
	.loc	1 26 30 is_stmt 1               ; geglu_aot.py:26:30
	s_waitcnt vmcnt(4)
	v_mul_f32_e32 v24, v13, v13
	v_mul_f32_e32 v24, v24, v13
	.loc	1 27 41                         ; geglu_aot.py:27:41
	v_fmamk_f32 v24, v24, 0x3d372713, v13
	.loc	1 27 33 is_stmt 0               ; geglu_aot.py:27:33
	v_mul_f32_e32 v24, 0x3f4c422a, v24
	s_mov_b32 s2, 0x3f200000
	.loc	1 28 23 is_stmt 1               ; geglu_aot.py:28:23
	v_cmp_nlt_f32_e64 s[2:3], |v24|, s2
                                        ; implicit-def: $vgpr25
	s_and_saveexec_b64 s[4:5], s[2:3]
	s_xor_b64 s[2:3], exec, s[4:5]
	s_cbranch_execz .LBB0_14
; %bb.13:
	v_add_f32_e64 v25, |v24|, |v24|
	s_mov_b32 s4, 0x3fb8aa3b
	v_mul_f32_e32 v26, 0x3fb8aa3b, v25
	v_fma_f32 v27, v25, s4, -v26
	v_rndne_f32_e32 v26, v26
	v_fmamk_f32 v27, v25, 0x32a5705f, v27
	v_fma_f32 v28, v25, s4, -v26
	v_add_f32_e32 v27, v28, v27
	v_exp_f32_e32 v27, v27
	v_cvt_i32_f32_e32 v26, v26
	s_mov_b32 s4, 0xc2ce8ed0
	v_cmp_ngt_f32_e32 vcc, s4, v25
	s_mov_b32 s4, 0x42b17218
	v_ldexp_f32 v26, v27, v26
	v_cndmask_b32_e32 v26, 0, v26, vcc
	v_mov_b32_e32 v27, 0x7f800000
	v_cmp_nlt_f32_e32 vcc, s4, v25
	s_nop 1
	v_cndmask_b32_e32 v25, v27, v26, vcc
	v_add_f32_e32 v25, 1.0, v25
	v_rcp_f32_e32 v25, v25
	s_nop 0
	v_fma_f32 v25, v25, -2.0, 1.0
.LBB0_14:                               ; %Flow4
	.loc	1 0 23 is_stmt 0                ; geglu_aot.py:0:23
	s_andn2_saveexec_b64 s[2:3], s[2:3]
; %bb.15:
	.loc	1 28 23 is_stmt 1               ; geglu_aot.py:28:23
	v_mul_f32_e32 v25, v24, v24
	v_mov_b32_e32 v26, 0x3ca908c9
	v_fmac_f32_e32 v26, 0xbbbac73d, v25
	v_fmaak_f32 v26, v25, v26, 0xbd5c1c4e
	v_fmaak_f32 v26, v25, v26, 0x3e088382
	v_fmaak_f32 v26, v25, v26, 0xbeaaaa99
	v_mul_f32_e64 v26, |v24|, v26
	v_fma_f32 v25, v25, v26, |v24|
; %bb.16:                               ; %__ocml_tanh_f32.exit3
	.loc	1 0 23 is_stmt 0                ; geglu_aot.py:0:23
	s_or_b64 exec, exec, s[2:3]
	.loc	1 26 30 is_stmt 1               ; geglu_aot.py:26:30
	s_waitcnt vmcnt(3)
	v_mul_f32_e32 v26, v14, v14
	v_mul_f32_e32 v26, v26, v14
	.loc	1 27 41                         ; geglu_aot.py:27:41
	v_fmamk_f32 v26, v26, 0x3d372713, v14
	.loc	1 27 33 is_stmt 0               ; geglu_aot.py:27:33
	v_mul_f32_e32 v26, 0x3f4c422a, v26
	s_mov_b32 s2, 0x3f200000
	.loc	1 28 23 is_stmt 1               ; geglu_aot.py:28:23
	v_cmp_nlt_f32_e64 s[2:3], |v26|, s2
                                        ; implicit-def: $vgpr27
	s_and_saveexec_b64 s[4:5], s[2:3]
	s_xor_b64 s[2:3], exec, s[4:5]
	s_cbranch_execz .LBB0_18
; %bb.17:
	v_add_f32_e64 v27, |v26|, |v26|
	s_mov_b32 s4, 0x3fb8aa3b
	v_mul_f32_e32 v28, 0x3fb8aa3b, v27
	v_fma_f32 v29, v27, s4, -v28
	v_rndne_f32_e32 v28, v28
	v_fmamk_f32 v29, v27, 0x32a5705f, v29
	v_fma_f32 v30, v27, s4, -v28
	v_add_f32_e32 v29, v30, v29
	v_exp_f32_e32 v29, v29
	v_cvt_i32_f32_e32 v28, v28
	s_mov_b32 s4, 0xc2ce8ed0
	v_cmp_ngt_f32_e32 vcc, s4, v27
	s_mov_b32 s4, 0x42b17218
	v_ldexp_f32 v28, v29, v28
	v_cndmask_b32_e32 v28, 0, v28, vcc
	v_mov_b32_e32 v29, 0x7f800000
	v_cmp_nlt_f32_e32 vcc, s4, v27
	s_nop 1
	v_cndmask_b32_e32 v27, v29, v28, vcc
	v_add_f32_e32 v27, 1.0, v27
	v_rcp_f32_e32 v27, v27
	s_nop 0
	v_fma_f32 v27, v27, -2.0, 1.0
.LBB0_18:                               ; %Flow3
	.loc	1 0 23 is_stmt 0                ; geglu_aot.py:0:23
	s_andn2_saveexec_b64 s[2:3], s[2:3]
; %bb.19:
	.loc	1 28 23 is_stmt 1               ; geglu_aot.py:28:23
	v_mul_f32_e32 v27, v26, v26
	v_mov_b32_e32 v28, 0x3ca908c9
	v_fmac_f32_e32 v28, 0xbbbac73d, v27
	v_fmaak_f32 v28, v27, v28, 0xbd5c1c4e
	v_fmaak_f32 v28, v27, v28, 0x3e088382
	;; [unrolled: 1-line block ×3, first 2 shown]
	v_mul_f32_e64 v28, |v26|, v28
	v_fma_f32 v27, v27, v28, |v26|
; %bb.20:                               ; %__ocml_tanh_f32.exit4
	.loc	1 0 23 is_stmt 0                ; geglu_aot.py:0:23
	s_or_b64 exec, exec, s[2:3]
	.loc	1 26 30 is_stmt 1               ; geglu_aot.py:26:30
	s_waitcnt vmcnt(2)
	v_mul_f32_e32 v28, v15, v15
	v_mul_f32_e32 v28, v28, v15
	.loc	1 27 41                         ; geglu_aot.py:27:41
	v_fmamk_f32 v28, v28, 0x3d372713, v15
	.loc	1 27 33 is_stmt 0               ; geglu_aot.py:27:33
	v_mul_f32_e32 v28, 0x3f4c422a, v28
	s_mov_b32 s2, 0x3f200000
	.loc	1 28 23 is_stmt 1               ; geglu_aot.py:28:23
	v_cmp_nlt_f32_e64 s[2:3], |v28|, s2
                                        ; implicit-def: $vgpr29
	s_and_saveexec_b64 s[4:5], s[2:3]
	s_xor_b64 s[2:3], exec, s[4:5]
	s_cbranch_execz .LBB0_22
; %bb.21:
	v_add_f32_e64 v29, |v28|, |v28|
	s_mov_b32 s4, 0x3fb8aa3b
	v_mul_f32_e32 v30, 0x3fb8aa3b, v29
	v_fma_f32 v31, v29, s4, -v30
	v_rndne_f32_e32 v30, v30
	v_fmamk_f32 v31, v29, 0x32a5705f, v31
	v_fma_f32 v32, v29, s4, -v30
	v_add_f32_e32 v31, v32, v31
	v_exp_f32_e32 v31, v31
	v_cvt_i32_f32_e32 v30, v30
	s_mov_b32 s4, 0xc2ce8ed0
	v_cmp_ngt_f32_e32 vcc, s4, v29
	s_mov_b32 s4, 0x42b17218
	v_ldexp_f32 v30, v31, v30
	v_cndmask_b32_e32 v30, 0, v30, vcc
	v_mov_b32_e32 v31, 0x7f800000
	v_cmp_nlt_f32_e32 vcc, s4, v29
	s_nop 1
	v_cndmask_b32_e32 v29, v31, v30, vcc
	v_add_f32_e32 v29, 1.0, v29
	v_rcp_f32_e32 v29, v29
	s_nop 0
	v_fma_f32 v29, v29, -2.0, 1.0
.LBB0_22:                               ; %Flow2
	.loc	1 0 23 is_stmt 0                ; geglu_aot.py:0:23
	s_andn2_saveexec_b64 s[2:3], s[2:3]
; %bb.23:
	.loc	1 28 23 is_stmt 1               ; geglu_aot.py:28:23
	v_mul_f32_e32 v29, v28, v28
	v_mov_b32_e32 v30, 0x3ca908c9
	v_fmac_f32_e32 v30, 0xbbbac73d, v29
	v_fmaak_f32 v30, v29, v30, 0xbd5c1c4e
	v_fmaak_f32 v30, v29, v30, 0x3e088382
	;; [unrolled: 1-line block ×3, first 2 shown]
	v_mul_f32_e64 v30, |v28|, v30
	v_fma_f32 v29, v29, v30, |v28|
; %bb.24:                               ; %__ocml_tanh_f32.exit5
	.loc	1 0 23 is_stmt 0                ; geglu_aot.py:0:23
	s_or_b64 exec, exec, s[2:3]
	.loc	1 26 30 is_stmt 1               ; geglu_aot.py:26:30
	s_waitcnt vmcnt(1)
	v_mul_f32_e32 v30, v16, v16
	v_mul_f32_e32 v30, v30, v16
	.loc	1 27 41                         ; geglu_aot.py:27:41
	v_fmamk_f32 v30, v30, 0x3d372713, v16
	.loc	1 27 33 is_stmt 0               ; geglu_aot.py:27:33
	v_mul_f32_e32 v30, 0x3f4c422a, v30
	s_mov_b32 s2, 0x3f200000
	.loc	1 28 23 is_stmt 1               ; geglu_aot.py:28:23
	v_cmp_nlt_f32_e64 s[2:3], |v30|, s2
                                        ; implicit-def: $vgpr31
	s_and_saveexec_b64 s[4:5], s[2:3]
	s_xor_b64 s[2:3], exec, s[4:5]
	s_cbranch_execz .LBB0_26
; %bb.25:
	v_add_f32_e64 v31, |v30|, |v30|
	s_mov_b32 s4, 0x3fb8aa3b
	v_mul_f32_e32 v32, 0x3fb8aa3b, v31
	v_fma_f32 v33, v31, s4, -v32
	v_rndne_f32_e32 v32, v32
	v_fmamk_f32 v33, v31, 0x32a5705f, v33
	v_fma_f32 v34, v31, s4, -v32
	v_add_f32_e32 v33, v34, v33
	v_exp_f32_e32 v33, v33
	v_cvt_i32_f32_e32 v32, v32
	s_mov_b32 s4, 0xc2ce8ed0
	v_cmp_ngt_f32_e32 vcc, s4, v31
	s_mov_b32 s4, 0x42b17218
	v_ldexp_f32 v32, v33, v32
	v_cndmask_b32_e32 v32, 0, v32, vcc
	v_mov_b32_e32 v33, 0x7f800000
	v_cmp_nlt_f32_e32 vcc, s4, v31
	s_nop 1
	v_cndmask_b32_e32 v31, v33, v32, vcc
	v_add_f32_e32 v31, 1.0, v31
	v_rcp_f32_e32 v31, v31
	s_nop 0
	v_fma_f32 v31, v31, -2.0, 1.0
.LBB0_26:                               ; %Flow1
	.loc	1 0 23 is_stmt 0                ; geglu_aot.py:0:23
	s_andn2_saveexec_b64 s[2:3], s[2:3]
; %bb.27:
	.loc	1 28 23 is_stmt 1               ; geglu_aot.py:28:23
	v_mul_f32_e32 v31, v30, v30
	v_mov_b32_e32 v32, 0x3ca908c9
	v_fmac_f32_e32 v32, 0xbbbac73d, v31
	v_fmaak_f32 v32, v31, v32, 0xbd5c1c4e
	v_fmaak_f32 v32, v31, v32, 0x3e088382
	;; [unrolled: 1-line block ×3, first 2 shown]
	v_mul_f32_e64 v32, |v30|, v32
	v_fma_f32 v31, v31, v32, |v30|
; %bb.28:                               ; %__ocml_tanh_f32.exit6
	.loc	1 0 23 is_stmt 0                ; geglu_aot.py:0:23
	s_or_b64 exec, exec, s[2:3]
	.loc	1 26 30 is_stmt 1               ; geglu_aot.py:26:30
	s_waitcnt vmcnt(0)
	v_mul_f32_e32 v32, v17, v17
	v_mul_f32_e32 v32, v32, v17
	.loc	1 27 41                         ; geglu_aot.py:27:41
	v_fmamk_f32 v32, v32, 0x3d372713, v17
	.loc	1 27 33 is_stmt 0               ; geglu_aot.py:27:33
	v_mul_f32_e32 v37, 0x3f4c422a, v32
	s_mov_b32 s2, 0x3f200000
	.loc	1 28 23 is_stmt 1               ; geglu_aot.py:28:23
	v_cmp_nlt_f32_e64 s[2:3], |v37|, s2
                                        ; implicit-def: $vgpr39
	s_and_saveexec_b64 s[4:5], s[2:3]
	s_xor_b64 s[2:3], exec, s[4:5]
	s_cbranch_execz .LBB0_30
; %bb.29:
	v_add_f32_e64 v32, |v37|, |v37|
	s_mov_b32 s4, 0x3fb8aa3b
	v_mul_f32_e32 v33, 0x3fb8aa3b, v32
	v_fma_f32 v34, v32, s4, -v33
	v_rndne_f32_e32 v33, v33
	v_fmamk_f32 v34, v32, 0x32a5705f, v34
	v_fma_f32 v35, v32, s4, -v33
	v_add_f32_e32 v34, v35, v34
	v_exp_f32_e32 v34, v34
	v_cvt_i32_f32_e32 v33, v33
	s_mov_b32 s4, 0xc2ce8ed0
	v_cmp_ngt_f32_e32 vcc, s4, v32
	s_mov_b32 s4, 0x42b17218
	v_ldexp_f32 v33, v34, v33
	v_cndmask_b32_e32 v33, 0, v33, vcc
	v_mov_b32_e32 v34, 0x7f800000
	v_cmp_nlt_f32_e32 vcc, s4, v32
	s_nop 1
	v_cndmask_b32_e32 v32, v34, v33, vcc
	v_add_f32_e32 v32, 1.0, v32
	v_rcp_f32_e32 v32, v32
	s_nop 0
	v_fma_f32 v39, v32, -2.0, 1.0
.LBB0_30:                               ; %Flow
	.loc	1 0 23 is_stmt 0                ; geglu_aot.py:0:23
	s_or_saveexec_b64 s[2:3], s[2:3]
	v_or_b32_e32 v34, 0x400, v0
	v_or_b32_e32 v35, 0x800, v0
	;; [unrolled: 1-line block ×6, first 2 shown]
	s_xor_b64 exec, exec, s[2:3]
; %bb.31:
	.loc	1 28 23 is_stmt 1               ; geglu_aot.py:28:23
	v_mul_f32_e32 v39, v37, v37
	v_mov_b32_e32 v40, 0x3ca908c9
	v_fmac_f32_e32 v40, 0xbbbac73d, v39
	v_fmaak_f32 v40, v39, v40, 0xbd5c1c4e
	v_fmaak_f32 v40, v39, v40, 0x3e088382
	;; [unrolled: 1-line block ×3, first 2 shown]
	v_mul_f32_e64 v40, |v37|, v40
	v_fma_f32 v39, v39, v40, |v37|
; %bb.32:                               ; %__ocml_tanh_f32.exit7
	.loc	1 0 23 is_stmt 0                ; geglu_aot.py:0:23
	s_or_b64 exec, exec, s[2:3]
	.loc	1 28 23                         ; geglu_aot.py:28:23
	s_brev_b32 s2, -2
	v_bfi_b32 v18, s2, v19, v18
	v_bfi_b32 v30, s2, v31, v30
	;; [unrolled: 1-line block ×7, first 2 shown]
	.loc	1 16 9 is_stmt 1                ; geglu_aot.py:16:9
	s_add_u32 s0, s6, s0
	.loc	1 28 23                         ; geglu_aot.py:28:23
	v_bfi_b32 v19, s2, v39, v37
	.loc	1 29 20                         ; geglu_aot.py:29:20
	v_mul_f32_e32 v10, 0.5, v10
	.loc	1 29 33 is_stmt 0               ; geglu_aot.py:29:33
	v_add_f32_e32 v18, 1.0, v18
	.loc	1 16 9 is_stmt 1                ; geglu_aot.py:16:9
	s_addc_u32 s1, s7, s1
	.loc	1 29 20                         ; geglu_aot.py:29:20
	v_mul_f32_e32 v11, 0.5, v11
	v_mul_f32_e32 v12, 0.5, v12
	;; [unrolled: 1-line block ×7, first 2 shown]
	.loc	1 29 33 is_stmt 0               ; geglu_aot.py:29:33
	v_add_f32_e32 v20, 1.0, v20
	v_add_f32_e32 v21, 1.0, v22
	;; [unrolled: 1-line block ×7, first 2 shown]
	.loc	1 29 29                         ; geglu_aot.py:29:29
	v_mul_f32_e32 v10, v10, v18
	v_mul_f32_e32 v11, v11, v20
	;; [unrolled: 1-line block ×8, first 2 shown]
	.loc	1 30 40 is_stmt 1               ; geglu_aot.py:30:40
	v_mul_f32_e32 v2, v2, v10
	.loc	1 31 30                         ; geglu_aot.py:31:30
	s_and_b32 s1, s1, 0xffff
	s_mov_b32 s3, 0x27000
	s_mov_b32 s2, 0x7ffffffe
	.loc	1 30 40                         ; geglu_aot.py:30:40
	v_mul_f32_e32 v3, v3, v11
	v_mul_f32_e32 v4, v4, v12
	;; [unrolled: 1-line block ×7, first 2 shown]
	.loc	1 31 30                         ; geglu_aot.py:31:30
	buffer_store_dword v2, v0, s[0:3], 0 offen
	buffer_store_dword v3, v34, s[0:3], 0 offen
	;; [unrolled: 1-line block ×8, first 2 shown]
	.loc	1 31 4 is_stmt 0                ; geglu_aot.py:31:4
	s_endpgm
.Ltmp2:
	.section	.rodata,"a",@progbits
	.p2align	6, 0x0
	.amdhsa_kernel _geglu_tanh_forward_kernel
		.amdhsa_group_segment_fixed_size 0
		.amdhsa_private_segment_fixed_size 0
		.amdhsa_kernarg_size 48
		.amdhsa_user_sgpr_count 14
		.amdhsa_user_sgpr_dispatch_ptr 0
		.amdhsa_user_sgpr_queue_ptr 0
		.amdhsa_user_sgpr_kernarg_segment_ptr 1
		.amdhsa_user_sgpr_dispatch_id 0
		.amdhsa_user_sgpr_kernarg_preload_length 12
		.amdhsa_user_sgpr_kernarg_preload_offset 0
		.amdhsa_user_sgpr_private_segment_size 0
		.amdhsa_uses_dynamic_stack 0
		.amdhsa_enable_private_segment 0
		.amdhsa_system_sgpr_workgroup_id_x 1
		.amdhsa_system_sgpr_workgroup_id_y 0
		.amdhsa_system_sgpr_workgroup_id_z 0
		.amdhsa_system_sgpr_workgroup_info 0
		.amdhsa_system_vgpr_workitem_id 0
		.amdhsa_next_free_vgpr 41
		.amdhsa_next_free_sgpr 16
		.amdhsa_accum_offset 44
		.amdhsa_reserve_vcc 1
		.amdhsa_reserve_xnack_mask 1
		.amdhsa_float_round_mode_32 0
		.amdhsa_float_round_mode_16_64 0
		.amdhsa_float_denorm_mode_32 3
		.amdhsa_float_denorm_mode_16_64 3
		.amdhsa_dx10_clamp 1
		.amdhsa_ieee_mode 1
		.amdhsa_fp16_overflow 0
		.amdhsa_tg_split 0
		.amdhsa_exception_fp_ieee_invalid_op 0
		.amdhsa_exception_fp_denorm_src 0
		.amdhsa_exception_fp_ieee_div_zero 0
		.amdhsa_exception_fp_ieee_overflow 0
		.amdhsa_exception_fp_ieee_underflow 0
		.amdhsa_exception_fp_ieee_inexact 0
		.amdhsa_exception_int_div_zero 0
	.end_amdhsa_kernel
	.text
.Lfunc_end0:
	.size	_geglu_tanh_forward_kernel, .Lfunc_end0-_geglu_tanh_forward_kernel
	.cfi_endproc
                                        ; -- End function
	.set _geglu_tanh_forward_kernel.num_vgpr, 41
	.set _geglu_tanh_forward_kernel.num_agpr, 0
	.set _geglu_tanh_forward_kernel.numbered_sgpr, 16
	.set _geglu_tanh_forward_kernel.num_named_barrier, 0
	.set _geglu_tanh_forward_kernel.private_seg_size, 0
	.set _geglu_tanh_forward_kernel.uses_vcc, 1
	.set _geglu_tanh_forward_kernel.uses_flat_scratch, 0
	.set _geglu_tanh_forward_kernel.has_dyn_sized_stack, 0
	.set _geglu_tanh_forward_kernel.has_recursion, 0
	.set _geglu_tanh_forward_kernel.has_indirect_call, 0
	.section	.AMDGPU.csdata,"",@progbits
; Kernel info:
; codeLenInByte = 2912
; TotalNumSgprs: 22
; NumVgprs: 41
; NumAgprs: 0
; TotalNumVgprs: 41
; ScratchSize: 0
; MemoryBound: 0
; FloatMode: 240
; IeeeMode: 1
; LDSByteSize: 0 bytes/workgroup (compile time only)
; SGPRBlocks: 2
; VGPRBlocks: 5
; NumSGPRsForWavesPerEU: 22
; NumVGPRsForWavesPerEU: 41
; AccumOffset: 44
; Occupancy: 8
; WaveLimiterHint : 0
; COMPUTE_PGM_RSRC2:SCRATCH_EN: 0
; COMPUTE_PGM_RSRC2:USER_SGPR: 14
; COMPUTE_PGM_RSRC2:TRAP_HANDLER: 0
; COMPUTE_PGM_RSRC2:TGID_X_EN: 1
; COMPUTE_PGM_RSRC2:TGID_Y_EN: 0
; COMPUTE_PGM_RSRC2:TGID_Z_EN: 0
; COMPUTE_PGM_RSRC2:TIDIG_COMP_CNT: 0
; COMPUTE_PGM_RSRC3_GFX90A:ACCUM_OFFSET: 10
; COMPUTE_PGM_RSRC3_GFX90A:TG_SPLIT: 0
	.text
	.p2alignl 6, 3212836864
	.fill 256, 4, 3212836864
	.section	.AMDGPU.gpr_maximums,"",@progbits
	.set amdgpu.max_num_vgpr, 0
	.set amdgpu.max_num_agpr, 0
	.set amdgpu.max_num_sgpr, 0
	.set amdgpu.max_num_named_barrier, 0
	.text
	.section	.debug_abbrev,"",@progbits
	.byte	1                               ; Abbreviation Code
	.byte	17                              ; DW_TAG_compile_unit
	.byte	0                               ; DW_CHILDREN_no
	.byte	37                              ; DW_AT_producer
	.byte	14                              ; DW_FORM_strp
	.byte	19                              ; DW_AT_language
	.byte	5                               ; DW_FORM_data2
	.byte	3                               ; DW_AT_name
	.byte	14                              ; DW_FORM_strp
	.byte	16                              ; DW_AT_stmt_list
	.byte	23                              ; DW_FORM_sec_offset
	.byte	27                              ; DW_AT_comp_dir
	.byte	14                              ; DW_FORM_strp
	.byte	17                              ; DW_AT_low_pc
	.byte	1                               ; DW_FORM_addr
	.byte	18                              ; DW_AT_high_pc
	.byte	6                               ; DW_FORM_data4
	.byte	0                               ; EOM(1)
	.byte	0                               ; EOM(2)
	;; [unrolled: 1-line block ×3, first 2 shown]
	.section	.debug_info,"",@progbits
.Lcu_begin0:
	.long	.Ldebug_info_end0-.Ldebug_info_start0 ; Length of Unit
.Ldebug_info_start0:
	.short	4                               ; DWARF version number
	.long	.debug_abbrev                   ; Offset Into Abbrev. Section
	.byte	8                               ; Address Size (in bytes)
	.byte	1                               ; Abbrev [1] 0xb:0x1f DW_TAG_compile_unit
	.long	.Linfo_string0                  ; DW_AT_producer
	.short	2                               ; DW_AT_language
	.long	.Linfo_string1                  ; DW_AT_name
	.long	.Lline_table_start0             ; DW_AT_stmt_list
	.long	.Linfo_string2                  ; DW_AT_comp_dir
	.quad	.Lfunc_begin0                   ; DW_AT_low_pc
	.long	.Lfunc_end0-.Lfunc_begin0       ; DW_AT_high_pc
.Ldebug_info_end0:
	.section	.debug_str,"MS",@progbits,1
.Linfo_string0:
	.asciz	"triton"                        ; string offset=0
.Linfo_string1:
	.asciz	"geglu_aot.py"                  ; string offset=7
.Linfo_string2:
	.asciz	"/root/src/amdgpu-assembly/repos/linkedin__Liger-Kernel/triton_aot_kernels" ; string offset=20
	.section	".note.GNU-stack","",@progbits
	.amdgpu_metadata
---
amdhsa.kernels:
  - .agpr_count:     0
    .args:
      - .address_space:  global
        .offset:         0
        .size:           8
        .value_kind:     global_buffer
      - .address_space:  global
        .offset:         8
        .size:           8
        .value_kind:     global_buffer
      - .address_space:  global
        .offset:         16
        .size:           8
        .value_kind:     global_buffer
      - .offset:         24
        .size:           4
        .value_kind:     by_value
      - .address_space:  global
        .offset:         32
        .size:           8
        .value_kind:     global_buffer
      - .address_space:  global
        .offset:         40
        .size:           8
        .value_kind:     global_buffer
    .group_segment_fixed_size: 0
    .kernarg_segment_align: 8
    .kernarg_segment_size: 48
    .max_flat_workgroup_size: 256
    .name:           _geglu_tanh_forward_kernel
    .private_segment_fixed_size: 0
    .sgpr_count:     22
    .sgpr_spill_count: 0
    .symbol:         _geglu_tanh_forward_kernel.kd
    .uniform_work_group_size: 1
    .uses_dynamic_stack: false
    .vgpr_count:     41
    .vgpr_spill_count: 0
    .wavefront_size: 64
amdhsa.target:   amdgcn-amd-amdhsa--gfx950
amdhsa.version:
  - 1
  - 2
...

	.end_amdgpu_metadata
	.section	.debug_line,"",@progbits
.Lline_table_start0:
